;; amdgpu-corpus repo=ROCm/rocFFT kind=compiled arch=gfx1201 opt=O3
	.text
	.amdgcn_target "amdgcn-amd-amdhsa--gfx1201"
	.amdhsa_code_object_version 6
	.protected	fft_rtc_back_len1274_factors_2_13_7_7_wgs_182_tpt_182_halfLds_sp_op_CI_CI_unitstride_sbrr_R2C_dirReg ; -- Begin function fft_rtc_back_len1274_factors_2_13_7_7_wgs_182_tpt_182_halfLds_sp_op_CI_CI_unitstride_sbrr_R2C_dirReg
	.globl	fft_rtc_back_len1274_factors_2_13_7_7_wgs_182_tpt_182_halfLds_sp_op_CI_CI_unitstride_sbrr_R2C_dirReg
	.p2align	8
	.type	fft_rtc_back_len1274_factors_2_13_7_7_wgs_182_tpt_182_halfLds_sp_op_CI_CI_unitstride_sbrr_R2C_dirReg,@function
fft_rtc_back_len1274_factors_2_13_7_7_wgs_182_tpt_182_halfLds_sp_op_CI_CI_unitstride_sbrr_R2C_dirReg: ; @fft_rtc_back_len1274_factors_2_13_7_7_wgs_182_tpt_182_halfLds_sp_op_CI_CI_unitstride_sbrr_R2C_dirReg
; %bb.0:
	s_clause 0x2
	s_load_b128 s[8:11], s[0:1], 0x0
	s_load_b128 s[4:7], s[0:1], 0x58
	;; [unrolled: 1-line block ×3, first 2 shown]
	v_mul_u32_u24_e32 v1, 0x169, v0
	v_mov_b32_e32 v3, 0
	s_delay_alu instid0(VALU_DEP_2) | instskip(NEXT) | instid1(VALU_DEP_1)
	v_lshrrev_b32_e32 v1, 16, v1
	v_add_nc_u32_e32 v5, ttmp9, v1
	v_mov_b32_e32 v1, 0
	v_mov_b32_e32 v2, 0
	;; [unrolled: 1-line block ×3, first 2 shown]
	s_wait_kmcnt 0x0
	v_cmp_lt_u64_e64 s2, s[10:11], 2
	s_delay_alu instid0(VALU_DEP_1)
	s_and_b32 vcc_lo, exec_lo, s2
	s_cbranch_vccnz .LBB0_8
; %bb.1:
	s_load_b64 s[2:3], s[0:1], 0x10
	v_mov_b32_e32 v1, 0
	v_mov_b32_e32 v2, 0
	s_add_nc_u64 s[16:17], s[14:15], 8
	s_add_nc_u64 s[18:19], s[12:13], 8
	s_mov_b64 s[20:21], 1
	s_delay_alu instid0(VALU_DEP_1)
	v_dual_mov_b32 v25, v2 :: v_dual_mov_b32 v24, v1
	s_wait_kmcnt 0x0
	s_add_nc_u64 s[22:23], s[2:3], 8
	s_mov_b32 s3, 0
.LBB0_2:                                ; =>This Inner Loop Header: Depth=1
	s_load_b64 s[24:25], s[22:23], 0x0
                                        ; implicit-def: $vgpr28_vgpr29
	s_mov_b32 s2, exec_lo
	s_wait_kmcnt 0x0
	v_or_b32_e32 v4, s25, v6
	s_delay_alu instid0(VALU_DEP_1)
	v_cmpx_ne_u64_e32 0, v[3:4]
	s_wait_alu 0xfffe
	s_xor_b32 s26, exec_lo, s2
	s_cbranch_execz .LBB0_4
; %bb.3:                                ;   in Loop: Header=BB0_2 Depth=1
	s_cvt_f32_u32 s2, s24
	s_cvt_f32_u32 s27, s25
	s_sub_nc_u64 s[30:31], 0, s[24:25]
	s_wait_alu 0xfffe
	s_delay_alu instid0(SALU_CYCLE_1) | instskip(SKIP_1) | instid1(SALU_CYCLE_2)
	s_fmamk_f32 s2, s27, 0x4f800000, s2
	s_wait_alu 0xfffe
	v_s_rcp_f32 s2, s2
	s_delay_alu instid0(TRANS32_DEP_1) | instskip(SKIP_1) | instid1(SALU_CYCLE_2)
	s_mul_f32 s2, s2, 0x5f7ffffc
	s_wait_alu 0xfffe
	s_mul_f32 s27, s2, 0x2f800000
	s_wait_alu 0xfffe
	s_delay_alu instid0(SALU_CYCLE_2) | instskip(SKIP_1) | instid1(SALU_CYCLE_2)
	s_trunc_f32 s27, s27
	s_wait_alu 0xfffe
	s_fmamk_f32 s2, s27, 0xcf800000, s2
	s_cvt_u32_f32 s29, s27
	s_wait_alu 0xfffe
	s_delay_alu instid0(SALU_CYCLE_1) | instskip(SKIP_1) | instid1(SALU_CYCLE_2)
	s_cvt_u32_f32 s28, s2
	s_wait_alu 0xfffe
	s_mul_u64 s[34:35], s[30:31], s[28:29]
	s_wait_alu 0xfffe
	s_mul_hi_u32 s37, s28, s35
	s_mul_i32 s36, s28, s35
	s_mul_hi_u32 s2, s28, s34
	s_mul_i32 s33, s29, s34
	s_wait_alu 0xfffe
	s_add_nc_u64 s[36:37], s[2:3], s[36:37]
	s_mul_hi_u32 s27, s29, s34
	s_mul_hi_u32 s38, s29, s35
	s_add_co_u32 s2, s36, s33
	s_wait_alu 0xfffe
	s_add_co_ci_u32 s2, s37, s27
	s_mul_i32 s34, s29, s35
	s_add_co_ci_u32 s35, s38, 0
	s_wait_alu 0xfffe
	s_add_nc_u64 s[34:35], s[2:3], s[34:35]
	s_wait_alu 0xfffe
	v_add_co_u32 v4, s2, s28, s34
	s_delay_alu instid0(VALU_DEP_1) | instskip(SKIP_1) | instid1(VALU_DEP_1)
	s_cmp_lg_u32 s2, 0
	s_add_co_ci_u32 s29, s29, s35
	v_readfirstlane_b32 s28, v4
	s_wait_alu 0xfffe
	s_delay_alu instid0(VALU_DEP_1)
	s_mul_u64 s[30:31], s[30:31], s[28:29]
	s_wait_alu 0xfffe
	s_mul_hi_u32 s35, s28, s31
	s_mul_i32 s34, s28, s31
	s_mul_hi_u32 s2, s28, s30
	s_mul_i32 s33, s29, s30
	s_wait_alu 0xfffe
	s_add_nc_u64 s[34:35], s[2:3], s[34:35]
	s_mul_hi_u32 s27, s29, s30
	s_mul_hi_u32 s28, s29, s31
	s_wait_alu 0xfffe
	s_add_co_u32 s2, s34, s33
	s_add_co_ci_u32 s2, s35, s27
	s_mul_i32 s30, s29, s31
	s_add_co_ci_u32 s31, s28, 0
	s_wait_alu 0xfffe
	s_add_nc_u64 s[30:31], s[2:3], s[30:31]
	s_wait_alu 0xfffe
	v_add_co_u32 v4, s2, v4, s30
	s_delay_alu instid0(VALU_DEP_1) | instskip(SKIP_1) | instid1(VALU_DEP_1)
	s_cmp_lg_u32 s2, 0
	s_add_co_ci_u32 s2, s29, s31
	v_mul_hi_u32 v13, v5, v4
	s_wait_alu 0xfffe
	v_mad_co_u64_u32 v[7:8], null, v5, s2, 0
	v_mad_co_u64_u32 v[9:10], null, v6, v4, 0
	;; [unrolled: 1-line block ×3, first 2 shown]
	s_delay_alu instid0(VALU_DEP_3) | instskip(SKIP_1) | instid1(VALU_DEP_4)
	v_add_co_u32 v4, vcc_lo, v13, v7
	s_wait_alu 0xfffd
	v_add_co_ci_u32_e32 v7, vcc_lo, 0, v8, vcc_lo
	s_delay_alu instid0(VALU_DEP_2) | instskip(SKIP_1) | instid1(VALU_DEP_2)
	v_add_co_u32 v4, vcc_lo, v4, v9
	s_wait_alu 0xfffd
	v_add_co_ci_u32_e32 v4, vcc_lo, v7, v10, vcc_lo
	s_wait_alu 0xfffd
	v_add_co_ci_u32_e32 v7, vcc_lo, 0, v12, vcc_lo
	s_delay_alu instid0(VALU_DEP_2) | instskip(SKIP_1) | instid1(VALU_DEP_2)
	v_add_co_u32 v4, vcc_lo, v4, v11
	s_wait_alu 0xfffd
	v_add_co_ci_u32_e32 v9, vcc_lo, 0, v7, vcc_lo
	s_delay_alu instid0(VALU_DEP_2) | instskip(SKIP_1) | instid1(VALU_DEP_3)
	v_mul_lo_u32 v10, s25, v4
	v_mad_co_u64_u32 v[7:8], null, s24, v4, 0
	v_mul_lo_u32 v11, s24, v9
	s_delay_alu instid0(VALU_DEP_2) | instskip(NEXT) | instid1(VALU_DEP_2)
	v_sub_co_u32 v7, vcc_lo, v5, v7
	v_add3_u32 v8, v8, v11, v10
	s_delay_alu instid0(VALU_DEP_1) | instskip(SKIP_1) | instid1(VALU_DEP_1)
	v_sub_nc_u32_e32 v10, v6, v8
	s_wait_alu 0xfffd
	v_subrev_co_ci_u32_e64 v10, s2, s25, v10, vcc_lo
	v_add_co_u32 v11, s2, v4, 2
	s_wait_alu 0xf1ff
	v_add_co_ci_u32_e64 v12, s2, 0, v9, s2
	v_sub_co_u32 v13, s2, v7, s24
	v_sub_co_ci_u32_e32 v8, vcc_lo, v6, v8, vcc_lo
	s_wait_alu 0xf1ff
	v_subrev_co_ci_u32_e64 v10, s2, 0, v10, s2
	s_delay_alu instid0(VALU_DEP_3) | instskip(NEXT) | instid1(VALU_DEP_3)
	v_cmp_le_u32_e32 vcc_lo, s24, v13
	v_cmp_eq_u32_e64 s2, s25, v8
	s_wait_alu 0xfffd
	v_cndmask_b32_e64 v13, 0, -1, vcc_lo
	v_cmp_le_u32_e32 vcc_lo, s25, v10
	s_wait_alu 0xfffd
	v_cndmask_b32_e64 v14, 0, -1, vcc_lo
	v_cmp_le_u32_e32 vcc_lo, s24, v7
	;; [unrolled: 3-line block ×3, first 2 shown]
	s_wait_alu 0xfffd
	v_cndmask_b32_e64 v15, 0, -1, vcc_lo
	v_cmp_eq_u32_e32 vcc_lo, s25, v10
	s_wait_alu 0xf1ff
	s_delay_alu instid0(VALU_DEP_2)
	v_cndmask_b32_e64 v7, v15, v7, s2
	s_wait_alu 0xfffd
	v_cndmask_b32_e32 v10, v14, v13, vcc_lo
	v_add_co_u32 v13, vcc_lo, v4, 1
	s_wait_alu 0xfffd
	v_add_co_ci_u32_e32 v14, vcc_lo, 0, v9, vcc_lo
	s_delay_alu instid0(VALU_DEP_3) | instskip(SKIP_1) | instid1(VALU_DEP_2)
	v_cmp_ne_u32_e32 vcc_lo, 0, v10
	s_wait_alu 0xfffd
	v_cndmask_b32_e32 v8, v14, v12, vcc_lo
	v_cndmask_b32_e32 v10, v13, v11, vcc_lo
	v_cmp_ne_u32_e32 vcc_lo, 0, v7
	s_wait_alu 0xfffd
	s_delay_alu instid0(VALU_DEP_2)
	v_dual_cndmask_b32 v29, v9, v8 :: v_dual_cndmask_b32 v28, v4, v10
.LBB0_4:                                ;   in Loop: Header=BB0_2 Depth=1
	s_wait_alu 0xfffe
	s_and_not1_saveexec_b32 s2, s26
	s_cbranch_execz .LBB0_6
; %bb.5:                                ;   in Loop: Header=BB0_2 Depth=1
	v_cvt_f32_u32_e32 v4, s24
	s_sub_co_i32 s26, 0, s24
	v_mov_b32_e32 v29, v3
	s_delay_alu instid0(VALU_DEP_2) | instskip(NEXT) | instid1(TRANS32_DEP_1)
	v_rcp_iflag_f32_e32 v4, v4
	v_mul_f32_e32 v4, 0x4f7ffffe, v4
	s_delay_alu instid0(VALU_DEP_1) | instskip(SKIP_1) | instid1(VALU_DEP_1)
	v_cvt_u32_f32_e32 v4, v4
	s_wait_alu 0xfffe
	v_mul_lo_u32 v7, s26, v4
	s_delay_alu instid0(VALU_DEP_1) | instskip(NEXT) | instid1(VALU_DEP_1)
	v_mul_hi_u32 v7, v4, v7
	v_add_nc_u32_e32 v4, v4, v7
	s_delay_alu instid0(VALU_DEP_1) | instskip(NEXT) | instid1(VALU_DEP_1)
	v_mul_hi_u32 v4, v5, v4
	v_mul_lo_u32 v7, v4, s24
	v_add_nc_u32_e32 v8, 1, v4
	s_delay_alu instid0(VALU_DEP_2) | instskip(NEXT) | instid1(VALU_DEP_1)
	v_sub_nc_u32_e32 v7, v5, v7
	v_subrev_nc_u32_e32 v9, s24, v7
	v_cmp_le_u32_e32 vcc_lo, s24, v7
	s_wait_alu 0xfffd
	s_delay_alu instid0(VALU_DEP_2) | instskip(NEXT) | instid1(VALU_DEP_1)
	v_dual_cndmask_b32 v7, v7, v9 :: v_dual_cndmask_b32 v4, v4, v8
	v_cmp_le_u32_e32 vcc_lo, s24, v7
	s_delay_alu instid0(VALU_DEP_2) | instskip(SKIP_1) | instid1(VALU_DEP_1)
	v_add_nc_u32_e32 v8, 1, v4
	s_wait_alu 0xfffd
	v_cndmask_b32_e32 v28, v4, v8, vcc_lo
.LBB0_6:                                ;   in Loop: Header=BB0_2 Depth=1
	s_wait_alu 0xfffe
	s_or_b32 exec_lo, exec_lo, s2
	v_mul_lo_u32 v4, v29, s24
	s_delay_alu instid0(VALU_DEP_2)
	v_mul_lo_u32 v9, v28, s25
	s_load_b64 s[26:27], s[18:19], 0x0
	v_mad_co_u64_u32 v[7:8], null, v28, s24, 0
	s_load_b64 s[24:25], s[16:17], 0x0
	s_add_nc_u64 s[20:21], s[20:21], 1
	s_add_nc_u64 s[16:17], s[16:17], 8
	s_wait_alu 0xfffe
	v_cmp_ge_u64_e64 s2, s[20:21], s[10:11]
	s_add_nc_u64 s[18:19], s[18:19], 8
	s_add_nc_u64 s[22:23], s[22:23], 8
	v_add3_u32 v4, v8, v9, v4
	v_sub_co_u32 v5, vcc_lo, v5, v7
	s_wait_alu 0xfffd
	s_delay_alu instid0(VALU_DEP_2) | instskip(SKIP_2) | instid1(VALU_DEP_1)
	v_sub_co_ci_u32_e32 v4, vcc_lo, v6, v4, vcc_lo
	s_and_b32 vcc_lo, exec_lo, s2
	s_wait_kmcnt 0x0
	v_mul_lo_u32 v6, s26, v4
	v_mul_lo_u32 v7, s27, v5
	v_mad_co_u64_u32 v[1:2], null, s26, v5, v[1:2]
	v_mul_lo_u32 v4, s24, v4
	v_mul_lo_u32 v8, s25, v5
	v_mad_co_u64_u32 v[24:25], null, s24, v5, v[24:25]
	s_delay_alu instid0(VALU_DEP_4) | instskip(NEXT) | instid1(VALU_DEP_2)
	v_add3_u32 v2, v7, v2, v6
	v_add3_u32 v25, v8, v25, v4
	s_wait_alu 0xfffe
	s_cbranch_vccnz .LBB0_9
; %bb.7:                                ;   in Loop: Header=BB0_2 Depth=1
	v_dual_mov_b32 v5, v28 :: v_dual_mov_b32 v6, v29
	s_branch .LBB0_2
.LBB0_8:
	v_dual_mov_b32 v25, v2 :: v_dual_mov_b32 v24, v1
	v_dual_mov_b32 v29, v6 :: v_dual_mov_b32 v28, v5
.LBB0_9:
	s_load_b64 s[0:1], s[0:1], 0x28
	v_mul_hi_u32 v3, 0x1681682, v0
	s_lshl_b64 s[10:11], s[10:11], 3
                                        ; implicit-def: $vgpr26
                                        ; implicit-def: $vgpr31
                                        ; implicit-def: $vgpr33
                                        ; implicit-def: $vgpr30
	s_wait_kmcnt 0x0
	v_cmp_gt_u64_e32 vcc_lo, s[0:1], v[28:29]
	v_cmp_le_u64_e64 s0, s[0:1], v[28:29]
	s_delay_alu instid0(VALU_DEP_1)
	s_and_saveexec_b32 s1, s0
	s_wait_alu 0xfffe
	s_xor_b32 s0, exec_lo, s1
; %bb.10:
	v_mul_u32_u24_e32 v1, 0xb6, v3
                                        ; implicit-def: $vgpr3
	s_delay_alu instid0(VALU_DEP_1) | instskip(NEXT) | instid1(VALU_DEP_1)
	v_sub_nc_u32_e32 v26, v0, v1
                                        ; implicit-def: $vgpr0
                                        ; implicit-def: $vgpr1_vgpr2
	v_add_nc_u32_e32 v31, 0xb6, v26
	v_add_nc_u32_e32 v33, 0x16c, v26
	;; [unrolled: 1-line block ×3, first 2 shown]
; %bb.11:
	s_wait_alu 0xfffe
	s_or_saveexec_b32 s1, s0
	s_add_nc_u64 s[2:3], s[14:15], s[10:11]
	s_wait_alu 0xfffe
	s_xor_b32 exec_lo, exec_lo, s1
	s_cbranch_execz .LBB0_13
; %bb.12:
	s_add_nc_u64 s[10:11], s[12:13], s[10:11]
	v_lshlrev_b64_e32 v[1:2], 3, v[1:2]
	s_load_b64 s[10:11], s[10:11], 0x0
	s_wait_kmcnt 0x0
	v_mul_lo_u32 v6, s11, v28
	v_mul_lo_u32 v7, s10, v29
	v_mad_co_u64_u32 v[4:5], null, s10, v28, 0
	s_delay_alu instid0(VALU_DEP_1) | instskip(SKIP_1) | instid1(VALU_DEP_2)
	v_add3_u32 v5, v5, v7, v6
	v_mul_u32_u24_e32 v6, 0xb6, v3
	v_lshlrev_b64_e32 v[3:4], 3, v[4:5]
	s_delay_alu instid0(VALU_DEP_2) | instskip(NEXT) | instid1(VALU_DEP_1)
	v_sub_nc_u32_e32 v26, v0, v6
	v_lshlrev_b32_e32 v14, 3, v26
	s_delay_alu instid0(VALU_DEP_3) | instskip(SKIP_1) | instid1(VALU_DEP_4)
	v_add_co_u32 v0, s0, s4, v3
	s_wait_alu 0xf1ff
	v_add_co_ci_u32_e64 v3, s0, s5, v4, s0
	v_add_nc_u32_e32 v31, 0xb6, v26
	s_delay_alu instid0(VALU_DEP_3) | instskip(SKIP_1) | instid1(VALU_DEP_3)
	v_add_co_u32 v0, s0, v0, v1
	s_wait_alu 0xf1ff
	v_add_co_ci_u32_e64 v1, s0, v3, v2, s0
	v_add_nc_u32_e32 v33, 0x16c, v26
	s_delay_alu instid0(VALU_DEP_3) | instskip(SKIP_1) | instid1(VALU_DEP_3)
	v_add_co_u32 v0, s0, v0, v14
	s_wait_alu 0xf1ff
	v_add_co_ci_u32_e64 v1, s0, 0, v1, s0
	s_clause 0x6
	global_load_b64 v[2:3], v[0:1], off
	global_load_b64 v[4:5], v[0:1], off offset:1456
	global_load_b64 v[6:7], v[0:1], off offset:2912
	;; [unrolled: 1-line block ×6, first 2 shown]
	v_add_nc_u32_e32 v14, 0, v14
	v_add_nc_u32_e32 v30, 0x222, v26
	s_delay_alu instid0(VALU_DEP_2)
	v_add_nc_u32_e32 v15, 0xa00, v14
	v_add_nc_u32_e32 v16, 0x1600, v14
	s_wait_loadcnt 0x5
	ds_store_2addr_b64 v14, v[2:3], v[4:5] offset1:182
	s_wait_loadcnt 0x3
	ds_store_2addr_b64 v15, v[6:7], v[8:9] offset0:44 offset1:226
	s_wait_loadcnt 0x1
	ds_store_2addr_b64 v16, v[10:11], v[12:13] offset0:24 offset1:206
	s_wait_loadcnt 0x0
	ds_store_b64 v14, v[0:1] offset:8736
.LBB0_13:
	s_or_b32 exec_lo, exec_lo, s1
	v_lshlrev_b32_e32 v27, 3, v26
	s_load_b64 s[2:3], s[2:3], 0x0
	global_wb scope:SCOPE_SE
	s_wait_dscnt 0x0
	s_wait_kmcnt 0x0
	s_barrier_signal -1
	s_barrier_wait -1
	v_add_nc_u32_e32 v36, 0, v27
	global_inv scope:SCOPE_SE
	v_cmp_gt_u32_e64 s0, 0x5b, v26
	v_lshl_add_u32 v32, v31, 4, 0
	v_lshl_add_u32 v34, v33, 4, 0
	ds_load_2addr_b64 v[16:19], v36 offset1:182
	v_add_nc_u32_e32 v0, 0x1200, v36
	v_add_nc_u32_e32 v1, 0xa00, v36
	;; [unrolled: 1-line block ×3, first 2 shown]
	ds_load_2addr_b64 v[2:5], v0 offset0:61 offset1:243
	ds_load_2addr_b64 v[20:23], v1 offset0:44 offset1:226
	;; [unrolled: 1-line block ×3, first 2 shown]
	global_wb scope:SCOPE_SE
	s_wait_dscnt 0x0
	s_barrier_signal -1
	s_barrier_wait -1
	global_inv scope:SCOPE_SE
	v_dual_sub_f32 v2, v16, v2 :: v_dual_sub_f32 v3, v17, v3
	v_dual_sub_f32 v11, v21, v7 :: v_dual_sub_f32 v14, v18, v4
	v_sub_f32_e32 v15, v19, v5
	v_add_nc_u32_e32 v35, v36, v27
	v_dual_sub_f32 v10, v20, v6 :: v_dual_sub_f32 v7, v23, v9
	v_sub_f32_e32 v6, v22, v8
	v_fma_f32 v0, v16, 2.0, -v2
	v_fma_f32 v1, v17, 2.0, -v3
	v_fma_f32 v12, v18, 2.0, -v14
	v_fma_f32 v13, v19, 2.0, -v15
	v_fma_f32 v8, v20, 2.0, -v10
	v_fma_f32 v9, v21, 2.0, -v11
	v_fma_f32 v4, v22, 2.0, -v6
	v_fma_f32 v5, v23, 2.0, -v7
	ds_store_2addr_b64 v35, v[0:1], v[2:3] offset1:1
	ds_store_2addr_b64 v32, v[12:13], v[14:15] offset1:1
	;; [unrolled: 1-line block ×3, first 2 shown]
	s_and_saveexec_b32 s1, s0
	s_cbranch_execz .LBB0_15
; %bb.14:
	v_lshl_add_u32 v16, v30, 4, 0
	ds_store_2addr_b64 v16, v[4:5], v[6:7] offset1:1
.LBB0_15:
	s_wait_alu 0xfffe
	s_or_b32 exec_lo, exec_lo, s1
	v_cmp_gt_u32_e64 s1, 0x62, v26
	global_wb scope:SCOPE_SE
	s_wait_dscnt 0x0
	s_barrier_signal -1
	s_barrier_wait -1
	global_inv scope:SCOPE_SE
                                        ; implicit-def: $vgpr35
                                        ; implicit-def: $vgpr23
                                        ; implicit-def: $vgpr19
	s_and_saveexec_b32 s4, s1
	s_cbranch_execz .LBB0_17
; %bb.16:
	v_add_nc_u32_e32 v4, 0x400, v36
	v_add_nc_u32_e32 v5, 0x800, v36
	;; [unrolled: 1-line block ×5, first 2 shown]
	ds_load_2addr_b64 v[0:3], v36 offset1:98
	ds_load_2addr_b64 v[12:15], v4 offset0:68 offset1:166
	ds_load_2addr_b64 v[8:11], v5 offset0:136 offset1:234
	;; [unrolled: 1-line block ×5, first 2 shown]
	ds_load_b64 v[34:35], v36 offset:9408
.LBB0_17:
	s_wait_alu 0xfffe
	s_or_b32 exec_lo, exec_lo, s4
	global_wb scope:SCOPE_SE
	s_wait_dscnt 0x0
	s_barrier_signal -1
	s_barrier_wait -1
	global_inv scope:SCOPE_SE
	s_and_saveexec_b32 s4, s1
	s_cbranch_execz .LBB0_19
; %bb.18:
	v_and_b32_e32 v32, 1, v26
	s_delay_alu instid0(VALU_DEP_1) | instskip(NEXT) | instid1(VALU_DEP_1)
	v_mul_u32_u24_e32 v37, 12, v32
	v_lshlrev_b32_e32 v37, 3, v37
	s_clause 0x5
	global_load_b128 v[45:48], v37, s[8:9] offset:80
	global_load_b128 v[49:52], v37, s[8:9]
	global_load_b128 v[53:56], v37, s[8:9] offset:64
	global_load_b128 v[57:60], v37, s[8:9] offset:16
	;; [unrolled: 1-line block ×4, first 2 shown]
	s_wait_loadcnt 0x5
	v_mul_f32_e32 v61, v34, v48
	s_wait_loadcnt 0x4
	v_mul_f32_e32 v63, v2, v50
	v_dual_mul_f32 v73, v3, v50 :: v_dual_mul_f32 v74, v13, v52
	v_dual_mul_f32 v37, v35, v48 :: v_dual_mul_f32 v48, v22, v46
	v_mul_f32_e32 v50, v12, v52
	s_wait_loadcnt 0x2
	v_mul_f32_e32 v52, v14, v58
	v_dual_mul_f32 v38, v23, v46 :: v_dual_mul_f32 v39, v21, v56
	v_dual_mul_f32 v46, v20, v56 :: v_dual_fmac_f32 v73, v2, v49
	s_wait_loadcnt 0x1
	v_dual_mul_f32 v62, v15, v58 :: v_dual_mul_f32 v41, v17, v68
	s_wait_loadcnt 0x0
	v_dual_mul_f32 v56, v18, v54 :: v_dual_mul_f32 v43, v5, v72
	v_dual_mul_f32 v58, v8, v60 :: v_dual_fmac_f32 v37, v34, v47
	v_dual_mul_f32 v64, v9, v60 :: v_dual_fmac_f32 v39, v20, v55
	;; [unrolled: 1-line block ×3, first 2 shown]
	v_mul_f32_e32 v54, v16, v68
	v_dual_mul_f32 v60, v10, v70 :: v_dual_fmac_f32 v43, v4, v71
	v_fma_f32 v35, v35, v47, -v61
	v_fma_f32 v61, v3, v49, -v63
	;; [unrolled: 1-line block ×4, first 2 shown]
	v_fmac_f32_e32 v38, v22, v45
	v_fma_f32 v21, v21, v55, -v46
	v_sub_f32_e32 v49, v61, v35
	v_fma_f32 v78, v15, v57, -v52
	v_mul_f32_e32 v44, v11, v70
	v_dual_fmac_f32 v62, v14, v57 :: v_dual_sub_f32 v75, v47, v23
	v_fma_f32 v14, v19, v53, -v56
	v_fma_f32 v77, v9, v59, -v58
	v_fmac_f32_e32 v74, v12, v51
	v_fma_f32 v34, v11, v69, -v60
	v_dual_add_f32 v46, v61, v35 :: v_dual_sub_f32 v63, v78, v21
	v_sub_f32_e32 v13, v73, v37
	v_fma_f32 v15, v17, v67, -v54
	v_dual_mul_f32 v42, v7, v66 :: v_dual_add_f32 v57, v78, v21
	v_dual_add_f32 v45, v77, v14 :: v_dual_fmac_f32 v64, v8, v59
	v_add_f32_e32 v11, v74, v38
	s_delay_alu instid0(VALU_DEP_4) | instskip(NEXT) | instid1(VALU_DEP_4)
	v_add_f32_e32 v19, v34, v15
	v_dual_fmac_f32 v42, v6, v65 :: v_dual_mul_f32 v87, 0xbf788fa5, v46
	v_fmac_f32_e32 v40, v18, v53
	v_fmac_f32_e32 v44, v10, v69
	v_mul_f32_e32 v68, v6, v66
	v_dual_sub_f32 v6, v74, v38 :: v_dual_add_f32 v53, v0, v73
	v_sub_f32_e32 v50, v77, v14
	v_mul_f32_e32 v70, v4, v72
	v_dual_add_f32 v48, v47, v23 :: v_dual_add_f32 v51, v1, v61
	s_delay_alu instid0(VALU_DEP_4)
	v_dual_mul_f32 v90, 0xbe750f2a, v49 :: v_dual_add_f32 v109, v53, v74
	v_mul_f32_e32 v61, 0x3f62ad3f, v19
	v_dual_sub_f32 v22, v34, v15 :: v_dual_mul_f32 v85, 0x3e750f2a, v50
	v_add_f32_e32 v12, v73, v37
	v_fma_f32 v17, v5, v71, -v70
	v_sub_f32_e32 v5, v62, v39
	s_delay_alu instid0(VALU_DEP_4)
	v_mul_f32_e32 v71, 0xbf6f5d39, v22
	v_sub_f32_e32 v3, v44, v41
	v_fma_f32 v16, v7, v65, -v68
	v_dual_add_f32 v10, v62, v39 :: v_dual_mul_f32 v93, 0xbf3f9e67, v46
	v_dual_mul_f32 v67, 0x3e750f2a, v22 :: v_dual_add_f32 v108, v51, v47
	v_dual_mul_f32 v106, 0xbf788fa5, v48 :: v_dual_fmamk_f32 v113, v12, 0xbf788fa5, v90
	v_dual_mul_f32 v51, 0xbf6f5d39, v75 :: v_dual_add_f32 v62, v109, v62
	v_dual_add_f32 v18, v17, v16 :: v_dual_mul_f32 v91, 0x3eedf032, v75
	v_dual_add_f32 v7, v43, v42 :: v_dual_sub_f32 v4, v64, v40
	v_mul_f32_e32 v89, 0xbf3f9e67, v57
	v_dual_add_f32 v9, v64, v40 :: v_dual_mul_f32 v58, 0xbeb58ec6, v19
	v_mul_f32_e32 v99, 0xbeb58ec6, v46
	v_dual_mul_f32 v103, 0x3f29c268, v75 :: v_dual_add_f32 v78, v108, v78
	v_dual_mul_f32 v81, 0x3f62ad3f, v45 :: v_dual_add_f32 v62, v62, v64
	v_dual_fmamk_f32 v115, v13, 0x3f29c268, v93 :: v_dual_add_f32 v64, v0, v113
	v_mul_f32_e32 v96, 0xbf29c268, v49
	v_dual_add_f32 v8, v44, v41 :: v_dual_mul_f32 v97, 0x3f7e222b, v75
	v_dual_sub_f32 v20, v17, v16 :: v_dual_mul_f32 v73, 0x3eedf032, v22
	v_dual_mul_f32 v88, 0x3f62ad3f, v48 :: v_dual_mul_f32 v101, 0x3f62ad3f, v57
	v_dual_mul_f32 v52, 0x3df6dbef, v18 :: v_dual_add_f32 v77, v78, v77
	v_dual_mul_f32 v94, 0x3df6dbef, v48 :: v_dual_mul_f32 v105, 0x3df6dbef, v46
	v_dual_mul_f32 v47, 0x3f62ad3f, v46 :: v_dual_fmamk_f32 v114, v11, 0x3f62ad3f, v91
	v_dual_mul_f32 v74, 0x3f6f5d39, v63 :: v_dual_fmamk_f32 v119, v13, 0x3f6f5d39, v99
	v_mul_f32_e32 v70, 0xbf7e222b, v49
	v_dual_fmamk_f32 v111, v13, 0x3e750f2a, v87 :: v_dual_fmamk_f32 v78, v6, 0x3e750f2a, v106
	v_add_f32_e32 v115, v1, v115
	v_dual_fmamk_f32 v117, v12, 0xbf3f9e67, v96 :: v_dual_add_f32 v64, v114, v64
	v_dual_fmac_f32 v87, 0xbe750f2a, v13 :: v_dual_add_f32 v34, v77, v34
	s_delay_alu instid0(VALU_DEP_2) | instskip(SKIP_4) | instid1(VALU_DEP_3)
	v_dual_mul_f32 v92, 0xbf29c268, v63 :: v_dual_add_f32 v117, v0, v117
	v_dual_mul_f32 v84, 0x3f52af12, v50 :: v_dual_add_f32 v111, v1, v111
	v_dual_mul_f32 v66, 0x3f7e222b, v20 :: v_dual_fmamk_f32 v109, v13, 0x3f7e222b, v105
	v_dual_mul_f32 v98, 0xbf52af12, v63 :: v_dual_mul_f32 v53, 0xbf52af12, v49
	v_dual_mul_f32 v69, 0xbf6f5d39, v20 :: v_dual_mul_f32 v102, 0xbf6f5d39, v49
	v_dual_mul_f32 v56, 0x3f116cb1, v46 :: v_dual_add_f32 v109, v1, v109
	v_dual_mul_f32 v49, 0xbeedf032, v49 :: v_dual_fmamk_f32 v112, v6, 0xbeedf032, v88
	v_dual_fmamk_f32 v118, v11, 0x3df6dbef, v97 :: v_dual_add_f32 v87, v1, v87
	v_mul_f32_e32 v60, 0xbe750f2a, v75
	v_dual_add_f32 v119, v1, v119 :: v_dual_mul_f32 v80, 0x3df6dbef, v45
	v_fmamk_f32 v113, v12, 0x3df6dbef, v70
	v_fma_f32 v90, 0xbf788fa5, v12, -v90
	v_dual_mul_f32 v86, 0xbf7e222b, v50 :: v_dual_add_f32 v111, v112, v111
	v_dual_mul_f32 v55, 0xbeb58ec6, v48 :: v_dual_fmamk_f32 v120, v12, 0xbeb58ec6, v102
	s_delay_alu instid0(VALU_DEP_4)
	v_dual_mul_f32 v46, 0x3f116cb1, v48 :: v_dual_add_f32 v113, v0, v113
	v_dual_add_f32 v117, v118, v117 :: v_dual_fmac_f32 v88, 0x3eedf032, v6
	v_fmamk_f32 v112, v11, 0xbf788fa5, v60
	v_dual_fmac_f32 v93, 0xbf29c268, v13 :: v_dual_add_f32 v90, v0, v90
	v_fma_f32 v91, 0x3f62ad3f, v11, -v91
	v_fmamk_f32 v114, v13, 0x3f52af12, v56
	v_dual_mul_f32 v100, 0xbf3f9e67, v48 :: v_dual_mul_f32 v83, 0xbf3f9e67, v18
	v_dual_fmamk_f32 v121, v11, 0xbf3f9e67, v103 :: v_dual_add_f32 v120, v0, v120
	s_delay_alu instid0(VALU_DEP_3)
	v_dual_add_f32 v114, v1, v114 :: v_dual_add_f32 v87, v88, v87
	v_add_f32_e32 v112, v112, v113
	v_fmamk_f32 v113, v12, 0x3f62ad3f, v49
	v_dual_mul_f32 v48, 0xbf52af12, v75 :: v_dual_mul_f32 v75, 0xbf52af12, v22
	v_mul_f32_e32 v110, 0xbf29c268, v20
	v_fmamk_f32 v118, v12, 0x3f116cb1, v53
	v_add_f32_e32 v120, v121, v120
	v_dual_fmamk_f32 v121, v13, 0x3eedf032, v47 :: v_dual_add_f32 v78, v78, v109
	v_dual_add_f32 v113, v0, v113 :: v_dual_fmamk_f32 v108, v6, 0xbf29c268, v100
	s_delay_alu instid0(VALU_DEP_2) | instskip(SKIP_2) | instid1(VALU_DEP_4)
	v_dual_mul_f32 v82, 0x3f116cb1, v19 :: v_dual_add_f32 v121, v1, v121
	v_fmamk_f32 v109, v6, 0x3f52af12, v46
	v_fmamk_f32 v116, v6, 0xbf7e222b, v94
	v_dual_add_f32 v108, v108, v119 :: v_dual_fmamk_f32 v119, v11, 0xbeb58ec6, v51
	v_add_f32_e32 v118, v0, v118
	v_dual_mul_f32 v104, 0x3eedf032, v63 :: v_dual_mul_f32 v79, 0x3eedf032, v50
	v_dual_add_f32 v109, v109, v121 :: v_dual_mul_f32 v68, 0x3f52af12, v20
	v_dual_add_f32 v115, v116, v115 :: v_dual_fmamk_f32 v116, v6, 0x3f6f5d39, v55
	v_add_f32_e32 v93, v1, v93
	v_dual_mul_f32 v121, 0xbe750f2a, v63 :: v_dual_add_f32 v118, v119, v118
	v_fmamk_f32 v119, v11, 0x3f116cb1, v48
	v_dual_mul_f32 v77, 0x3f29c268, v50 :: v_dual_add_f32 v44, v62, v44
	v_dual_mul_f32 v50, 0xbf6f5d39, v50 :: v_dual_fmac_f32 v99, 0xbf6f5d39, v13
	v_fmac_f32_e32 v94, 0x3f7e222b, v6
	v_dual_sub_f32 v2, v43, v42 :: v_dual_mul_f32 v95, 0x3f116cb1, v57
	v_dual_mul_f32 v72, 0x3f116cb1, v45 :: v_dual_mul_f32 v59, 0x3f116cb1, v18
	v_dual_mul_f32 v76, 0xbf788fa5, v45 :: v_dual_mul_f32 v65, 0xbf788fa5, v19
	;; [unrolled: 1-line block ×3, first 2 shown]
	v_add_f32_e32 v114, v116, v114
	v_mul_f32_e32 v116, 0xbf788fa5, v57
	v_dual_mul_f32 v122, 0x3df6dbef, v57 :: v_dual_add_f32 v99, v1, v99
	v_mul_f32_e32 v63, 0xbf7e222b, v63
	v_dual_add_f32 v57, v119, v113 :: v_dual_mul_f32 v62, 0x3df6dbef, v19
	v_mul_f32_e32 v119, 0xbf3f9e67, v19
	v_mul_f32_e32 v123, 0xbf29c268, v22
	v_add_f32_e32 v19, v91, v90
	v_mul_f32_e32 v90, 0x3f62ad3f, v18
	v_fmac_f32_e32 v100, 0x3f29c268, v6
	v_mul_f32_e32 v88, 0x3f7e222b, v22
	v_dual_add_f32 v22, v94, v93 :: v_dual_mul_f32 v93, 0xbf788fa5, v18
	v_fma_f32 v18, 0xbf3f9e67, v12, -v96
	v_mul_f32_e32 v113, 0xbf3f9e67, v45
	v_mul_f32_e32 v45, 0xbeb58ec6, v45
	;; [unrolled: 1-line block ×4, first 2 shown]
	v_fma_f32 v20, 0x3df6dbef, v11, -v97
	v_fma_f32 v96, 0xbeb58ec6, v12, -v102
	v_dual_fmac_f32 v105, 0xbf7e222b, v13 :: v_dual_add_f32 v18, v0, v18
	v_fma_f32 v97, 0xbf3f9e67, v11, -v103
	s_delay_alu instid0(VALU_DEP_3) | instskip(SKIP_1) | instid1(VALU_DEP_4)
	v_dual_add_f32 v17, v34, v17 :: v_dual_add_f32 v96, v0, v96
	v_add_f32_e32 v43, v44, v43
	v_add_f32_e32 v18, v20, v18
	v_fmamk_f32 v20, v5, 0x3f29c268, v89
	s_delay_alu instid0(VALU_DEP_4) | instskip(SKIP_1) | instid1(VALU_DEP_3)
	v_dual_fmac_f32 v89, 0xbf29c268, v5 :: v_dual_add_f32 v96, v97, v96
	v_fmamk_f32 v97, v5, 0x3f52af12, v95
	v_dual_fmac_f32 v95, 0xbf52af12, v5 :: v_dual_add_f32 v20, v20, v111
	v_fmamk_f32 v111, v10, 0xbeb58ec6, v74
	s_delay_alu instid0(VALU_DEP_4) | instskip(SKIP_1) | instid1(VALU_DEP_4)
	v_add_f32_e32 v87, v89, v87
	v_dual_add_f32 v102, v1, v105 :: v_dual_fmamk_f32 v103, v10, 0x3f116cb1, v98
	v_dual_fmamk_f32 v89, v8, 0xbeb58ec6, v71 :: v_dual_add_f32 v22, v95, v22
	s_delay_alu instid0(VALU_DEP_4) | instskip(SKIP_3) | instid1(VALU_DEP_3)
	v_add_f32_e32 v111, v111, v112
	v_dual_add_f32 v99, v100, v99 :: v_dual_fmamk_f32 v100, v10, 0xbf3f9e67, v92
	v_dual_fmamk_f32 v112, v10, 0x3df6dbef, v63 :: v_dual_fmamk_f32 v95, v9, 0x3df6dbef, v86
	v_fmac_f32_e32 v106, 0xbe750f2a, v6
	v_dual_fmamk_f32 v105, v5, 0xbeedf032, v101 :: v_dual_add_f32 v64, v100, v64
	s_delay_alu instid0(VALU_DEP_3) | instskip(NEXT) | instid1(VALU_DEP_3)
	v_dual_fmamk_f32 v100, v10, 0x3f62ad3f, v104 :: v_dual_add_f32 v57, v112, v57
	v_dual_add_f32 v102, v106, v102 :: v_dual_add_f32 v97, v97, v115
	s_delay_alu instid0(VALU_DEP_3) | instskip(NEXT) | instid1(VALU_DEP_3)
	v_add_f32_e32 v105, v105, v108
	v_add_f32_e32 v100, v100, v120
	v_fmamk_f32 v112, v4, 0xbe750f2a, v76
	v_fmamk_f32 v108, v5, 0x3e750f2a, v116
	v_fma_f32 v92, 0xbf3f9e67, v10, -v92
	v_fmamk_f32 v106, v5, 0xbf6f5d39, v107
	v_fmac_f32_e32 v101, 0x3eedf032, v5
	v_add_f32_e32 v97, v112, v97
	v_dual_add_f32 v108, v108, v114 :: v_dual_fmamk_f32 v115, v10, 0xbf788fa5, v121
	s_delay_alu instid0(VALU_DEP_3)
	v_dual_fmamk_f32 v114, v4, 0xbf52af12, v72 :: v_dual_add_f32 v99, v101, v99
	v_fma_f32 v98, 0x3f116cb1, v10, -v98
	v_fma_f32 v104, 0x3f62ad3f, v10, -v104
	v_fmac_f32_e32 v107, 0x3f6f5d39, v5
	v_dual_add_f32 v19, v92, v19 :: v_dual_add_f32 v78, v106, v78
	v_dual_fmamk_f32 v106, v5, 0x3f7e222b, v122 :: v_dual_add_f32 v95, v95, v100
	s_delay_alu instid0(VALU_DEP_4) | instskip(SKIP_1) | instid1(VALU_DEP_3)
	v_dual_fmamk_f32 v101, v9, 0x3f62ad3f, v79 :: v_dual_add_f32 v96, v104, v96
	v_add_f32_e32 v103, v103, v117
	v_dual_add_f32 v115, v115, v118 :: v_dual_add_f32 v106, v106, v109
	v_dual_fmamk_f32 v109, v9, 0x3f116cb1, v84 :: v_dual_add_f32 v18, v98, v18
	v_dual_add_f32 v102, v107, v102 :: v_dual_fmamk_f32 v107, v9, 0xbf3f9e67, v77
	v_fmamk_f32 v34, v9, 0xbf788fa5, v85
	v_fma_f32 v84, 0x3f116cb1, v9, -v84
	v_dual_add_f32 v101, v101, v111 :: v_dual_fmac_f32 v76, 0x3e750f2a, v4
	v_dual_add_f32 v16, v17, v16 :: v_dual_fmamk_f32 v17, v8, 0x3f116cb1, v75
	v_fmamk_f32 v92, v4, 0x3f7e222b, v80
	v_add_f32_e32 v20, v114, v20
	v_add_f32_e32 v64, v109, v64
	v_fmamk_f32 v109, v9, 0xbeb58ec6, v50
	v_dual_fmamk_f32 v112, v3, 0xbeedf032, v61 :: v_dual_add_f32 v19, v84, v19
	v_fmac_f32_e32 v72, 0x3f52af12, v4
	v_fmamk_f32 v111, v3, 0xbe750f2a, v65
	v_fma_f32 v85, 0xbf788fa5, v9, -v85
	s_delay_alu instid0(VALU_DEP_4)
	v_add_f32_e32 v97, v112, v97
	v_add_f32_e32 v107, v107, v115
	v_dual_add_f32 v34, v34, v103 :: v_dual_fmamk_f32 v103, v8, 0x3f62ad3f, v73
	v_dual_add_f32 v42, v43, v42 :: v_dual_fmamk_f32 v43, v2, 0x3f29c268, v83
	v_fmamk_f32 v114, v4, 0x3f6f5d39, v45
	v_fmac_f32_e32 v61, 0x3eedf032, v3
	v_dual_fmac_f32 v65, 0x3e750f2a, v3 :: v_dual_add_f32 v22, v76, v22
	v_dual_fmac_f32 v80, 0xbf7e222b, v4 :: v_dual_add_f32 v101, v17, v101
	v_add_f32_e32 v92, v92, v105
	v_dual_fmamk_f32 v44, v2, 0xbf7e222b, v52 :: v_dual_add_f32 v57, v109, v57
	v_dual_fmamk_f32 v105, v7, 0x3df6dbef, v66 :: v_dual_add_f32 v72, v72, v87
	;; [unrolled: 1-line block ×3, first 2 shown]
	v_fmamk_f32 v85, v3, 0x3f29c268, v119
	v_dual_add_f32 v34, v103, v34 :: v_dual_add_f32 v103, v42, v41
	v_add_f32_e32 v106, v114, v106
	v_dual_fmamk_f32 v98, v4, 0xbeedf032, v81 :: v_dual_add_f32 v61, v61, v22
	v_add_f32_e32 v80, v80, v99
	v_fmamk_f32 v99, v8, 0xbf3f9e67, v123
	v_fmamk_f32 v117, v3, 0x3f6f5d39, v58
	v_dual_fmamk_f32 v104, v4, 0xbf29c268, v113 :: v_dual_add_f32 v85, v85, v106
	v_dual_add_f32 v78, v98, v78 :: v_dual_fmamk_f32 v109, v3, 0x3f52af12, v82
	v_fmamk_f32 v98, v7, 0xbeb58ec6, v69
	v_add_f32_e32 v57, v99, v57
	v_add_f32_e32 v99, v16, v15
	v_dual_add_f32 v104, v104, v108 :: v_dual_fmamk_f32 v115, v2, 0xbf52af12, v59
	v_fma_f32 v71, 0xbeb58ec6, v8, -v71
	v_fmamk_f32 v108, v8, 0xbf788fa5, v67
	s_delay_alu instid0(VALU_DEP_4) | instskip(SKIP_3) | instid1(VALU_DEP_4)
	v_add_f32_e32 v14, v99, v14
	v_fma_f32 v86, 0x3df6dbef, v9, -v86
	v_dual_add_f32 v20, v117, v20 :: v_dual_fmamk_f32 v117, v7, 0x3f62ad3f, v91
	v_dual_fmamk_f32 v114, v7, 0x3f116cb1, v68 :: v_dual_add_f32 v65, v65, v80
	v_dual_add_f32 v14, v14, v21 :: v_dual_fmac_f32 v45, 0xbf6f5d39, v4
	v_dual_add_f32 v71, v71, v19 :: v_dual_fmamk_f32 v100, v2, 0x3f6f5d39, v54
	v_dual_add_f32 v95, v108, v95 :: v_dual_add_f32 v64, v89, v64
	v_fmamk_f32 v89, v2, 0x3e750f2a, v93
	s_delay_alu instid0(VALU_DEP_4)
	v_dual_add_f32 v14, v14, v23 :: v_dual_fmac_f32 v93, 0xbe750f2a, v2
	v_add_f32_e32 v78, v109, v78
	v_dual_fmac_f32 v58, 0xbf6f5d39, v3 :: v_dual_add_f32 v17, v98, v34
	v_dual_add_f32 v86, v86, v96 :: v_dual_fmac_f32 v59, 0x3f52af12, v2
	v_fma_f32 v67, 0xbf788fa5, v8, -v67
	v_dual_fmamk_f32 v76, v8, 0x3df6dbef, v88 :: v_dual_add_f32 v35, v14, v35
	v_dual_add_f32 v42, v43, v78 :: v_dual_fmac_f32 v47, 0xbeedf032, v13
	v_add_f32_e32 v34, v103, v40
	s_delay_alu instid0(VALU_DEP_3) | instskip(SKIP_2) | instid1(VALU_DEP_4)
	v_dual_add_f32 v67, v67, v86 :: v_dual_add_f32 v76, v76, v107
	v_fmac_f32_e32 v55, 0xbf6f5d39, v6
	v_fmamk_f32 v112, v7, 0xbf788fa5, v94
	v_add_f32_e32 v34, v34, v39
	v_fma_f32 v66, 0x3df6dbef, v7, -v66
	v_fmac_f32_e32 v54, 0xbf6f5d39, v2
	v_fma_f32 v68, 0x3f116cb1, v7, -v68
	s_delay_alu instid0(VALU_DEP_4)
	v_dual_add_f32 v92, v111, v92 :: v_dual_add_f32 v23, v34, v38
	v_add_f32_e32 v58, v58, v72
	v_dual_add_f32 v43, v117, v76 :: v_dual_fmac_f32 v52, 0x3f7e222b, v2
	v_add_f32_e32 v21, v112, v57
	v_fmac_f32_e32 v56, 0xbf52af12, v13
	v_dual_fmamk_f32 v96, v2, 0xbeedf032, v90 :: v_dual_add_f32 v41, v87, v101
	v_fma_f32 v70, 0x3df6dbef, v12, -v70
	v_fmac_f32_e32 v81, 0x3eedf032, v4
	v_dual_add_f32 v19, v114, v95 :: v_dual_fmamk_f32 v84, v3, 0xbf7e222b, v62
	v_add_f32_e32 v15, v105, v64
	v_dual_add_f32 v39, v66, v71 :: v_dual_fmac_f32 v46, 0xbf52af12, v6
	v_fmac_f32_e32 v90, 0x3eedf032, v2
	v_dual_add_f32 v34, v23, v37 :: v_dual_add_f32 v37, v68, v67
	v_add_f32_e32 v40, v52, v58
	v_dual_add_f32 v58, v54, v61 :: v_dual_fmac_f32 v119, 0xbf29c268, v3
	v_add_f32_e32 v54, v1, v56
	v_add_f32_e32 v1, v1, v47
	v_fma_f32 v73, 0x3f62ad3f, v8, -v73
	v_add_f32_e32 v70, v0, v70
	v_dual_add_f32 v84, v84, v104 :: v_dual_add_f32 v23, v81, v102
	v_fma_f32 v14, 0xbf788fa5, v11, -v60
	v_add_f32_e32 v1, v46, v1
	v_fmac_f32_e32 v122, 0xbf7e222b, v5
	v_fmac_f32_e32 v82, 0xbf52af12, v3
	v_dual_add_f32 v16, v44, v20 :: v_dual_fmac_f32 v83, 0xbf29c268, v2
	v_add_f32_e32 v14, v14, v70
	v_fma_f32 v52, 0xbeb58ec6, v10, -v74
	v_dual_add_f32 v1, v122, v1 :: v_dual_add_f32 v72, v73, v18
	v_add_f32_e32 v23, v82, v23
	v_fma_f32 v51, 0xbeb58ec6, v11, -v51
	s_delay_alu instid0(VALU_DEP_4)
	v_add_f32_e32 v52, v52, v14
	v_fma_f32 v6, 0xbf3f9e67, v9, -v77
	v_fmac_f32_e32 v116, 0xbe750f2a, v5
	v_add_f32_e32 v14, v83, v23
	v_fma_f32 v23, 0x3f116cb1, v12, -v53
	v_add_f32_e32 v20, v115, v92
	v_fma_f32 v12, 0x3f62ad3f, v12, -v49
	v_fma_f32 v11, 0x3f116cb1, v11, -v48
	v_dual_add_f32 v18, v100, v97 :: v_dual_fmac_f32 v113, 0x3f29c268, v4
	v_add_f32_e32 v23, v0, v23
	v_add_f32_e32 v44, v96, v84
	;; [unrolled: 1-line block ×3, first 2 shown]
	v_fma_f32 v56, 0x3f62ad3f, v9, -v79
	v_lshrrev_b32_e32 v4, 1, v26
	v_add_f32_e32 v23, v51, v23
	v_fma_f32 v51, 0xbf788fa5, v10, -v121
	v_add_f32_e32 v22, v89, v85
	v_add_f32_e32 v0, v11, v0
	;; [unrolled: 1-line block ×3, first 2 shown]
	v_fma_f32 v53, 0x3f116cb1, v8, -v75
	v_add_f32_e32 v23, v51, v23
	v_add_f32_e32 v38, v59, v65
	v_mul_u32_u24_e32 v4, 26, v4
	v_fmac_f32_e32 v62, 0x3f7e222b, v3
	s_delay_alu instid0(VALU_DEP_4)
	v_dual_add_f32 v52, v53, v52 :: v_dual_add_f32 v5, v6, v23
	v_fma_f32 v6, 0x3df6dbef, v10, -v63
	v_fma_f32 v10, 0x3df6dbef, v8, -v88
	;; [unrolled: 1-line block ×3, first 2 shown]
	v_add_f32_e32 v1, v45, v1
	v_fma_f32 v3, 0xbf3f9e67, v8, -v123
	v_add_f32_e32 v0, v6, v0
	v_dual_add_f32 v5, v10, v5 :: v_dual_add_f32 v54, v55, v54
	v_fma_f32 v6, 0xbeb58ec6, v9, -v50
	v_or_b32_e32 v4, v4, v32
	v_fma_f32 v69, 0xbeb58ec6, v7, -v69
	s_delay_alu instid0(VALU_DEP_4) | instskip(NEXT) | instid1(VALU_DEP_4)
	v_dual_add_f32 v13, v53, v52 :: v_dual_add_f32 v54, v116, v54
	v_add_f32_e32 v0, v6, v0
	v_fma_f32 v6, 0x3f62ad3f, v7, -v91
	v_add_f32_e32 v8, v119, v1
	v_fma_f32 v7, 0xbf788fa5, v7, -v94
	v_add_f32_e32 v54, v113, v54
	v_add_f32_e32 v2, v3, v0
	v_lshl_add_u32 v4, v4, 3, 0
	v_dual_add_f32 v57, v69, v72 :: v_dual_add_f32 v0, v6, v5
	s_delay_alu instid0(VALU_DEP_4) | instskip(NEXT) | instid1(VALU_DEP_1)
	v_dual_add_f32 v52, v62, v54 :: v_dual_add_f32 v3, v93, v8
	v_dual_add_f32 v2, v7, v2 :: v_dual_add_f32 v1, v90, v52
	ds_store_2addr_b64 v4, v[34:35], v[21:22] offset1:2
	ds_store_2addr_b64 v4, v[43:44], v[41:42] offset0:4 offset1:6
	ds_store_2addr_b64 v4, v[19:20], v[17:18] offset0:8 offset1:10
	ds_store_2addr_b64 v4, v[15:16], v[39:40] offset0:12 offset1:14
	ds_store_2addr_b64 v4, v[57:58], v[37:38] offset0:16 offset1:18
	ds_store_2addr_b64 v4, v[13:14], v[0:1] offset0:20 offset1:22
	ds_store_b64 v4, v[2:3] offset:192
.LBB0_19:
	s_wait_alu 0xfffe
	s_or_b32 exec_lo, exec_lo, s4
	v_and_b32_e32 v0, 0xff, v26
	global_wb scope:SCOPE_SE
	s_wait_dscnt 0x0
	s_barrier_signal -1
	s_barrier_wait -1
	global_inv scope:SCOPE_SE
	v_mul_lo_u16 v0, 0x4f, v0
	v_lshl_add_u32 v4, v31, 3, 0
	v_lshl_add_u32 v3, v33, 3, 0
	;; [unrolled: 1-line block ×3, first 2 shown]
	v_mul_u32_u24_e32 v32, 6, v26
	v_lshrrev_b16 v1, 11, v0
	s_mov_b32 s4, exec_lo
	s_delay_alu instid0(VALU_DEP_1) | instskip(NEXT) | instid1(VALU_DEP_1)
	v_mul_lo_u16 v0, v1, 26
	v_sub_nc_u16 v0, v26, v0
	s_delay_alu instid0(VALU_DEP_1) | instskip(NEXT) | instid1(VALU_DEP_1)
	v_and_b32_e32 v23, 0xff, v0
	v_mul_u32_u24_e32 v0, 6, v23
	s_delay_alu instid0(VALU_DEP_1)
	v_lshlrev_b32_e32 v0, 3, v0
	s_clause 0x2
	global_load_b128 v[5:8], v0, s[8:9] offset:192
	global_load_b128 v[9:12], v0, s[8:9] offset:208
	global_load_b128 v[13:16], v0, s[8:9] offset:224
	ds_load_b64 v[21:22], v4
	ds_load_b64 v[34:35], v3
	;; [unrolled: 1-line block ×3, first 2 shown]
	v_add_nc_u32_e32 v0, 0x1600, v36
	ds_load_b64 v[39:40], v36 offset:8736
	ds_load_b64 v[41:42], v36
	v_and_b32_e32 v1, 0xffff, v1
	v_lshlrev_b32_e32 v23, 3, v23
	ds_load_2addr_b64 v[17:20], v0 offset0:24 offset1:206
	global_wb scope:SCOPE_SE
	s_wait_loadcnt_dscnt 0x0
	s_barrier_signal -1
	s_barrier_wait -1
	global_inv scope:SCOPE_SE
	v_dual_mul_f32 v43, v8, v35 :: v_dual_mul_f32 v44, v10, v38
	v_mul_f32_e32 v8, v8, v34
	v_mul_u32_u24_e32 v1, 0x5b0, v1
	v_dual_mul_f32 v10, v10, v37 :: v_dual_mul_f32 v47, v16, v40
	v_mul_f32_e32 v45, v12, v18
	v_dual_mul_f32 v12, v12, v17 :: v_dual_fmac_f32 v43, v7, v34
	s_delay_alu instid0(VALU_DEP_4) | instskip(SKIP_3) | instid1(VALU_DEP_3)
	v_add3_u32 v1, 0, v1, v23
	v_dual_mul_f32 v23, v6, v22 :: v_dual_lshlrev_b32 v32, 3, v32
	v_mul_f32_e32 v6, v6, v21
	v_dual_mul_f32 v46, v14, v20 :: v_dual_fmac_f32 v45, v11, v17
	v_fmac_f32_e32 v23, v5, v21
	v_dual_fmac_f32 v44, v9, v37 :: v_dual_fmac_f32 v47, v15, v39
	s_delay_alu instid0(VALU_DEP_4)
	v_fma_f32 v5, v5, v22, -v6
	v_fma_f32 v6, v7, v35, -v8
	;; [unrolled: 1-line block ×4, first 2 shown]
	v_add_f32_e32 v11, v23, v47
	v_fmac_f32_e32 v46, v13, v19
	v_dual_mul_f32 v16, v16, v39 :: v_dual_sub_f32 v17, v45, v44
	s_delay_alu instid0(VALU_DEP_1) | instskip(SKIP_1) | instid1(VALU_DEP_2)
	v_fma_f32 v8, v15, v40, -v16
	v_mul_f32_e32 v14, v14, v19
	v_add_f32_e32 v12, v5, v8
	v_sub_f32_e32 v5, v5, v8
	s_delay_alu instid0(VALU_DEP_3) | instskip(SKIP_3) | instid1(VALU_DEP_4)
	v_fma_f32 v10, v13, v20, -v14
	v_sub_f32_e32 v13, v23, v47
	v_add_f32_e32 v8, v43, v46
	v_dual_add_f32 v16, v7, v9 :: v_dual_sub_f32 v7, v9, v7
	v_add_f32_e32 v14, v6, v10
	v_sub_f32_e32 v6, v6, v10
	v_add_f32_e32 v10, v44, v45
	v_add_f32_e32 v9, v8, v11
	s_delay_alu instid0(VALU_DEP_4) | instskip(NEXT) | instid1(VALU_DEP_4)
	v_dual_sub_f32 v19, v8, v11 :: v_dual_add_f32 v18, v14, v12
	v_dual_add_f32 v22, v7, v6 :: v_dual_sub_f32 v35, v6, v5
	s_delay_alu instid0(VALU_DEP_4) | instskip(SKIP_2) | instid1(VALU_DEP_3)
	v_sub_f32_e32 v11, v11, v10
	v_dual_sub_f32 v15, v43, v46 :: v_dual_sub_f32 v20, v14, v12
	v_sub_f32_e32 v12, v12, v16
	v_dual_sub_f32 v14, v16, v14 :: v_dual_mul_f32 v11, 0x3f4a47b2, v11
	s_delay_alu instid0(VALU_DEP_3)
	v_dual_add_f32 v21, v17, v15 :: v_dual_sub_f32 v8, v10, v8
	v_dual_sub_f32 v23, v17, v15 :: v_dual_sub_f32 v34, v7, v6
	v_dual_add_f32 v9, v10, v9 :: v_dual_add_f32 v10, v16, v18
	v_sub_f32_e32 v17, v13, v17
	v_sub_f32_e32 v7, v5, v7
	;; [unrolled: 1-line block ×3, first 2 shown]
	v_add_f32_e32 v13, v21, v13
	v_add_f32_e32 v16, v22, v5
	v_dual_mul_f32 v12, 0x3f4a47b2, v12 :: v_dual_add_f32 v5, v9, v41
	v_dual_mul_f32 v18, 0x3d64c772, v8 :: v_dual_mul_f32 v21, 0x3d64c772, v14
	v_dual_mul_f32 v22, 0x3f08b237, v23 :: v_dual_mul_f32 v23, 0x3f08b237, v34
	v_dual_mul_f32 v37, 0xbf5ff5aa, v35 :: v_dual_add_f32 v6, v10, v42
	s_delay_alu instid0(VALU_DEP_4)
	v_fmamk_f32 v14, v14, 0x3d64c772, v12
	v_mul_f32_e32 v34, 0xbf5ff5aa, v15
	v_fma_f32 v18, 0x3f3bfb3b, v19, -v18
	v_fmamk_f32 v8, v8, 0x3d64c772, v11
	v_fma_f32 v21, 0x3f3bfb3b, v20, -v21
	v_fma_f32 v11, 0xbf3bfb3b, v19, -v11
	;; [unrolled: 1-line block ×3, first 2 shown]
	v_dual_fmamk_f32 v19, v17, 0xbeae86e6, v22 :: v_dual_fmamk_f32 v20, v7, 0xbeae86e6, v23
	v_fma_f32 v15, 0xbf5ff5aa, v15, -v22
	v_fma_f32 v22, 0xbf5ff5aa, v35, -v23
	;; [unrolled: 1-line block ×3, first 2 shown]
	v_fmamk_f32 v7, v9, 0xbf955555, v5
	v_fmamk_f32 v9, v10, 0xbf955555, v6
	v_dual_fmac_f32 v19, 0xbee1c552, v13 :: v_dual_fmac_f32 v20, 0xbee1c552, v16
	v_dual_fmac_f32 v15, 0xbee1c552, v13 :: v_dual_fmac_f32 v22, 0xbee1c552, v16
	s_delay_alu instid0(VALU_DEP_3) | instskip(SKIP_1) | instid1(VALU_DEP_1)
	v_add_f32_e32 v35, v14, v9
	v_fma_f32 v17, 0x3eae86e6, v17, -v34
	v_fmac_f32_e32 v17, 0xbee1c552, v13
	v_dual_add_f32 v13, v18, v7 :: v_dual_add_f32 v18, v12, v9
	v_dual_add_f32 v34, v8, v7 :: v_dual_fmac_f32 v23, 0xbee1c552, v16
	v_add_f32_e32 v14, v21, v9
	v_add_f32_e32 v16, v11, v7
	s_delay_alu instid0(VALU_DEP_4) | instskip(NEXT) | instid1(VALU_DEP_4)
	v_dual_sub_f32 v8, v35, v19 :: v_dual_sub_f32 v11, v13, v22
	v_dual_add_f32 v7, v20, v34 :: v_dual_sub_f32 v10, v18, v17
	s_delay_alu instid0(VALU_DEP_3)
	v_add_f32_e32 v9, v23, v16
	v_dual_add_f32 v12, v15, v14 :: v_dual_add_f32 v13, v22, v13
	v_sub_f32_e32 v14, v14, v15
	v_dual_sub_f32 v15, v16, v23 :: v_dual_add_f32 v16, v17, v18
	v_dual_sub_f32 v17, v34, v20 :: v_dual_add_f32 v18, v19, v35
	ds_store_2addr_b64 v1, v[5:6], v[7:8] offset1:26
	ds_store_2addr_b64 v1, v[9:10], v[11:12] offset0:52 offset1:78
	ds_store_2addr_b64 v1, v[13:14], v[15:16] offset0:104 offset1:130
	ds_store_b64 v1, v[17:18] offset:1248
	global_wb scope:SCOPE_SE
	s_wait_dscnt 0x0
	s_barrier_signal -1
	s_barrier_wait -1
	global_inv scope:SCOPE_SE
	s_clause 0x2
	global_load_b128 v[5:8], v32, s[8:9] offset:1440
	global_load_b128 v[9:12], v32, s[8:9] offset:1456
	;; [unrolled: 1-line block ×3, first 2 shown]
	ds_load_b64 v[21:22], v4
	ds_load_b64 v[34:35], v3
	;; [unrolled: 1-line block ×3, first 2 shown]
	ds_load_2addr_b64 v[17:20], v0 offset0:24 offset1:206
	ds_load_b64 v[39:40], v36 offset:8736
	ds_load_b64 v[41:42], v36
	v_add_nc_u32_e32 v1, 0xa00, v36
	global_wb scope:SCOPE_SE
	s_wait_loadcnt_dscnt 0x0
	s_barrier_signal -1
	s_barrier_wait -1
	global_inv scope:SCOPE_SE
	v_dual_mul_f32 v23, v6, v22 :: v_dual_mul_f32 v32, v8, v35
	v_dual_mul_f32 v8, v8, v34 :: v_dual_mul_f32 v45, v14, v20
	v_mul_f32_e32 v6, v6, v21
	v_dual_mul_f32 v46, v16, v40 :: v_dual_mul_f32 v43, v10, v38
	s_delay_alu instid0(VALU_DEP_4) | instskip(SKIP_1) | instid1(VALU_DEP_3)
	v_dual_mul_f32 v44, v12, v18 :: v_dual_fmac_f32 v23, v5, v21
	v_mul_f32_e32 v12, v12, v17
	v_dual_mul_f32 v14, v14, v19 :: v_dual_fmac_f32 v43, v9, v37
	v_fmac_f32_e32 v45, v13, v19
	v_fma_f32 v5, v5, v22, -v6
	v_fmac_f32_e32 v32, v7, v34
	v_fmac_f32_e32 v46, v15, v39
	v_mul_f32_e32 v10, v10, v37
	v_mul_f32_e32 v16, v16, v39
	v_fma_f32 v6, v7, v35, -v8
	s_delay_alu instid0(VALU_DEP_3) | instskip(SKIP_4) | instid1(VALU_DEP_2)
	v_fma_f32 v7, v9, v38, -v10
	v_fma_f32 v10, v13, v20, -v14
	v_sub_f32_e32 v13, v23, v46
	v_fma_f32 v8, v15, v40, -v16
	v_fma_f32 v9, v11, v18, -v12
	v_add_f32_e32 v12, v5, v8
	v_dual_sub_f32 v5, v5, v8 :: v_dual_add_f32 v8, v32, v45
	v_fmac_f32_e32 v44, v11, v17
	v_sub_f32_e32 v15, v32, v45
	v_add_f32_e32 v11, v23, v46
	v_add_f32_e32 v14, v6, v10
	v_dual_add_f32 v16, v7, v9 :: v_dual_sub_f32 v7, v9, v7
	s_delay_alu instid0(VALU_DEP_3) | instskip(SKIP_2) | instid1(VALU_DEP_2)
	v_add_f32_e32 v9, v8, v11
	v_dual_sub_f32 v17, v44, v43 :: v_dual_sub_f32 v6, v6, v10
	v_dual_add_f32 v10, v43, v44 :: v_dual_sub_f32 v19, v8, v11
	v_dual_add_f32 v18, v14, v12 :: v_dual_add_f32 v21, v17, v15
	v_sub_f32_e32 v23, v17, v15
	v_sub_f32_e32 v17, v13, v17
	s_delay_alu instid0(VALU_DEP_4)
	v_dual_sub_f32 v11, v11, v10 :: v_dual_sub_f32 v8, v10, v8
	v_dual_sub_f32 v20, v14, v12 :: v_dual_sub_f32 v15, v15, v13
	v_sub_f32_e32 v32, v7, v6
	v_dual_add_f32 v22, v7, v6 :: v_dual_sub_f32 v7, v5, v7
	v_dual_sub_f32 v12, v12, v16 :: v_dual_add_f32 v9, v10, v9
	v_dual_sub_f32 v14, v16, v14 :: v_dual_mul_f32 v11, 0x3f4a47b2, v11
	v_sub_f32_e32 v34, v6, v5
	v_dual_add_f32 v10, v16, v18 :: v_dual_add_f32 v13, v21, v13
	s_delay_alu instid0(VALU_DEP_3) | instskip(NEXT) | instid1(VALU_DEP_3)
	v_dual_mul_f32 v18, 0x3d64c772, v8 :: v_dual_mul_f32 v21, 0x3d64c772, v14
	v_dual_add_f32 v16, v22, v5 :: v_dual_mul_f32 v35, 0xbf5ff5aa, v34
	v_dual_mul_f32 v22, 0x3f08b237, v23 :: v_dual_add_f32 v5, v9, v41
	v_mul_f32_e32 v23, 0x3f08b237, v32
	v_mul_f32_e32 v32, 0xbf5ff5aa, v15
	v_fma_f32 v18, 0x3f3bfb3b, v19, -v18
	v_mul_f32_e32 v12, 0x3f4a47b2, v12
	v_fmamk_f32 v8, v8, 0x3d64c772, v11
	v_fma_f32 v21, 0x3f3bfb3b, v20, -v21
	v_fma_f32 v11, 0xbf3bfb3b, v19, -v11
	v_dual_fmamk_f32 v19, v17, 0xbeae86e6, v22 :: v_dual_add_f32 v6, v10, v42
	v_fmamk_f32 v14, v14, 0x3d64c772, v12
	v_fma_f32 v12, 0xbf3bfb3b, v20, -v12
	v_fmamk_f32 v20, v7, 0xbeae86e6, v23
	v_fma_f32 v15, 0xbf5ff5aa, v15, -v22
	v_fma_f32 v22, 0xbf5ff5aa, v34, -v23
	;; [unrolled: 1-line block ×4, first 2 shown]
	v_fmamk_f32 v7, v9, 0xbf955555, v5
	v_dual_fmac_f32 v19, 0xbee1c552, v13 :: v_dual_fmac_f32 v20, 0xbee1c552, v16
	v_dual_fmac_f32 v15, 0xbee1c552, v13 :: v_dual_fmac_f32 v22, 0xbee1c552, v16
	v_fmac_f32_e32 v17, 0xbee1c552, v13
	s_delay_alu instid0(VALU_DEP_4) | instskip(SKIP_1) | instid1(VALU_DEP_2)
	v_add_f32_e32 v13, v18, v7
	v_dual_fmac_f32 v23, 0xbee1c552, v16 :: v_dual_add_f32 v16, v11, v7
	v_sub_f32_e32 v11, v13, v22
	v_add_f32_e32 v13, v22, v13
	v_dual_fmamk_f32 v9, v10, 0xbf955555, v6 :: v_dual_add_f32 v32, v8, v7
	s_delay_alu instid0(VALU_DEP_1) | instskip(SKIP_1) | instid1(VALU_DEP_3)
	v_add_f32_e32 v34, v14, v9
	v_add_f32_e32 v18, v12, v9
	v_dual_add_f32 v14, v21, v9 :: v_dual_add_f32 v7, v20, v32
	s_delay_alu instid0(VALU_DEP_3) | instskip(NEXT) | instid1(VALU_DEP_3)
	v_dual_add_f32 v9, v23, v16 :: v_dual_sub_f32 v8, v34, v19
	v_sub_f32_e32 v10, v18, v17
	s_delay_alu instid0(VALU_DEP_3)
	v_add_f32_e32 v12, v15, v14
	v_sub_f32_e32 v14, v14, v15
	v_dual_sub_f32 v15, v16, v23 :: v_dual_add_f32 v16, v17, v18
	v_dual_sub_f32 v17, v32, v20 :: v_dual_add_f32 v18, v19, v34
	ds_store_2addr_b64 v36, v[5:6], v[7:8] offset1:182
	ds_store_2addr_b64 v1, v[9:10], v[11:12] offset0:44 offset1:226
	ds_store_2addr_b64 v0, v[13:14], v[15:16] offset0:24 offset1:206
	ds_store_b64 v36, v[17:18] offset:8736
	global_wb scope:SCOPE_SE
	s_wait_dscnt 0x0
	s_barrier_signal -1
	s_barrier_wait -1
	global_inv scope:SCOPE_SE
	ds_load_b64 v[0:1], v36
	v_sub_nc_u32_e32 v5, 0, v27
                                        ; implicit-def: $vgpr7
                                        ; implicit-def: $vgpr6
	v_cmpx_ne_u32_e32 0, v26
	s_wait_alu 0xfffe
	s_xor_b32 s4, exec_lo, s4
	s_cbranch_execz .LBB0_21
; %bb.20:
	ds_load_b64 v[9:10], v5 offset:10192
	v_mov_b32_e32 v27, 0
	s_delay_alu instid0(VALU_DEP_1) | instskip(NEXT) | instid1(VALU_DEP_1)
	v_lshlrev_b64_e32 v[6:7], 3, v[26:27]
	v_add_co_u32 v6, s1, s8, v6
	s_wait_alu 0xf1ff
	s_delay_alu instid0(VALU_DEP_2)
	v_add_co_ci_u32_e64 v7, s1, s9, v7, s1
	global_load_b64 v[7:8], v[6:7], off offset:10176
	s_wait_dscnt 0x0
	v_sub_f32_e32 v6, v0, v9
	v_add_f32_e32 v11, v10, v1
	v_sub_f32_e32 v1, v1, v10
	v_add_f32_e32 v0, v9, v0
	s_delay_alu instid0(VALU_DEP_3) | instskip(SKIP_1) | instid1(VALU_DEP_1)
	v_dual_mul_f32 v10, 0.5, v6 :: v_dual_mul_f32 v11, 0.5, v11
	s_wait_loadcnt 0x0
	v_mul_f32_e32 v9, v8, v10
	s_delay_alu instid0(VALU_DEP_1) | instskip(SKIP_1) | instid1(VALU_DEP_2)
	v_fma_f32 v6, 0.5, v0, v9
	v_fma_f32 v0, v0, 0.5, -v9
	v_dual_fmac_f32 v6, v7, v11 :: v_dual_mul_f32 v1, 0.5, v1
	s_delay_alu instid0(VALU_DEP_1) | instskip(SKIP_1) | instid1(VALU_DEP_2)
	v_fma_f32 v12, v11, v8, v1
	v_fma_f32 v1, v11, v8, -v1
	v_fma_f32 v8, -v7, v10, v12
	s_delay_alu instid0(VALU_DEP_2)
	v_fma_f32 v1, -v7, v10, v1
	v_fma_f32 v7, -v7, v11, v0
	ds_store_b32 v36, v8 offset:4
	ds_store_b32 v5, v1 offset:10196
                                        ; implicit-def: $vgpr0_vgpr1
.LBB0_21:
	s_wait_alu 0xfffe
	s_and_not1_saveexec_b32 s1, s4
	s_cbranch_execz .LBB0_23
; %bb.22:
	v_mov_b32_e32 v8, 0
	s_wait_dscnt 0x0
	v_add_f32_e32 v6, v0, v1
	ds_store_b32 v36, v8 offset:4
	ds_store_b32 v5, v8 offset:10196
	ds_load_b32 v7, v8 offset:5100
	s_wait_dscnt 0x0
	v_xor_b32_e32 v9, 0x80000000, v7
	v_sub_f32_e32 v7, v0, v1
	ds_store_b32 v8, v9 offset:5100
.LBB0_23:
	s_wait_alu 0xfffe
	s_or_b32 exec_lo, exec_lo, s1
	v_mov_b32_e32 v32, 0
	s_wait_dscnt 0x0
	s_delay_alu instid0(VALU_DEP_1) | instskip(SKIP_1) | instid1(VALU_DEP_1)
	v_lshlrev_b64_e32 v[0:1], 3, v[31:32]
	v_mov_b32_e32 v34, v32
	v_lshlrev_b64_e32 v[8:9], 3, v[33:34]
	s_delay_alu instid0(VALU_DEP_3) | instskip(SKIP_1) | instid1(VALU_DEP_4)
	v_add_co_u32 v0, s1, s8, v0
	s_wait_alu 0xf1ff
	v_add_co_ci_u32_e64 v1, s1, s9, v1, s1
	s_delay_alu instid0(VALU_DEP_3)
	v_add_co_u32 v8, s1, s8, v8
	global_load_b64 v[0:1], v[0:1], off offset:10176
	s_wait_alu 0xf1ff
	v_add_co_ci_u32_e64 v9, s1, s9, v9, s1
	global_load_b64 v[8:9], v[8:9], off offset:10176
	ds_store_b32 v36, v6
	ds_store_b32 v5, v7 offset:10192
	ds_load_b64 v[6:7], v4
	ds_load_b64 v[10:11], v5 offset:8736
	s_wait_dscnt 0x0
	v_add_f32_e32 v13, v7, v11
	v_dual_sub_f32 v7, v7, v11 :: v_dual_sub_f32 v12, v6, v10
	s_delay_alu instid0(VALU_DEP_1) | instskip(NEXT) | instid1(VALU_DEP_2)
	v_mul_f32_e32 v7, 0.5, v7
	v_dual_mul_f32 v11, 0.5, v12 :: v_dual_mul_f32 v12, 0.5, v13
	s_wait_loadcnt 0x1
	s_delay_alu instid0(VALU_DEP_1) | instskip(NEXT) | instid1(VALU_DEP_2)
	v_dual_add_f32 v10, v6, v10 :: v_dual_mul_f32 v13, v1, v11
	v_fma_f32 v14, v12, v1, v7
	v_fma_f32 v1, v12, v1, -v7
	s_delay_alu instid0(VALU_DEP_3) | instskip(SKIP_1) | instid1(VALU_DEP_4)
	v_fma_f32 v6, 0.5, v10, v13
	v_fma_f32 v10, v10, 0.5, -v13
	v_fma_f32 v7, -v0, v11, v14
	s_delay_alu instid0(VALU_DEP_4) | instskip(NEXT) | instid1(VALU_DEP_4)
	v_fma_f32 v1, -v0, v11, v1
	v_fmac_f32_e32 v6, v0, v12
	s_delay_alu instid0(VALU_DEP_4)
	v_fma_f32 v0, -v0, v12, v10
	ds_store_b64 v4, v[6:7]
	ds_store_b64 v5, v[0:1] offset:8736
	ds_load_b64 v[0:1], v3
	ds_load_b64 v[6:7], v5 offset:7280
	s_wait_dscnt 0x0
	v_add_f32_e32 v10, v1, v7
	v_dual_sub_f32 v1, v1, v7 :: v_dual_sub_f32 v4, v0, v6
	s_delay_alu instid0(VALU_DEP_1) | instskip(NEXT) | instid1(VALU_DEP_2)
	v_dual_add_f32 v6, v0, v6 :: v_dual_mul_f32 v1, 0.5, v1
	v_mul_f32_e32 v4, 0.5, v4
	s_wait_loadcnt 0x0
	s_delay_alu instid0(VALU_DEP_1) | instskip(NEXT) | instid1(VALU_DEP_1)
	v_dual_mul_f32 v10, 0.5, v10 :: v_dual_mul_f32 v7, v9, v4
	v_fma_f32 v11, v10, v9, v1
	v_fma_f32 v9, v10, v9, -v1
	s_delay_alu instid0(VALU_DEP_3) | instskip(SKIP_1) | instid1(VALU_DEP_4)
	v_fma_f32 v0, 0.5, v6, v7
	v_fma_f32 v6, v6, 0.5, -v7
	v_fma_f32 v1, -v8, v4, v11
	s_delay_alu instid0(VALU_DEP_4) | instskip(NEXT) | instid1(VALU_DEP_4)
	v_fma_f32 v7, -v8, v4, v9
	v_fmac_f32_e32 v0, v8, v10
	s_delay_alu instid0(VALU_DEP_4)
	v_fma_f32 v6, -v8, v10, v6
	ds_store_b64 v3, v[0:1]
	ds_store_b64 v5, v[6:7] offset:7280
	s_and_saveexec_b32 s1, s0
	s_cbranch_execz .LBB0_25
; %bb.24:
	v_mov_b32_e32 v31, v32
	s_delay_alu instid0(VALU_DEP_1) | instskip(NEXT) | instid1(VALU_DEP_1)
	v_lshlrev_b64_e32 v[0:1], 3, v[30:31]
	v_add_co_u32 v0, s0, s8, v0
	s_wait_alu 0xf1ff
	s_delay_alu instid0(VALU_DEP_2)
	v_add_co_ci_u32_e64 v1, s0, s9, v1, s0
	global_load_b64 v[0:1], v[0:1], off offset:10176
	ds_load_b64 v[3:4], v2
	ds_load_b64 v[6:7], v5 offset:5824
	s_wait_dscnt 0x0
	v_dual_sub_f32 v8, v3, v6 :: v_dual_add_f32 v9, v4, v7
	s_delay_alu instid0(VALU_DEP_1) | instskip(NEXT) | instid1(VALU_DEP_1)
	v_dual_sub_f32 v4, v4, v7 :: v_dual_mul_f32 v7, 0.5, v8
	v_mul_f32_e32 v4, 0.5, v4
	s_wait_loadcnt 0x0
	s_delay_alu instid0(VALU_DEP_2) | instskip(SKIP_1) | instid1(VALU_DEP_2)
	v_dual_mul_f32 v8, 0.5, v9 :: v_dual_mul_f32 v9, v1, v7
	v_add_f32_e32 v6, v3, v6
	v_fma_f32 v10, v8, v1, v4
	v_fma_f32 v1, v8, v1, -v4
	s_delay_alu instid0(VALU_DEP_3) | instskip(NEXT) | instid1(VALU_DEP_3)
	v_fma_f32 v3, 0.5, v6, v9
	v_fma_f32 v4, -v0, v7, v10
	s_delay_alu instid0(VALU_DEP_3) | instskip(NEXT) | instid1(VALU_DEP_3)
	v_fma_f32 v1, -v0, v7, v1
	v_fmac_f32_e32 v3, v0, v8
	v_fma_f32 v6, v6, 0.5, -v9
	s_delay_alu instid0(VALU_DEP_1)
	v_fma_f32 v0, -v0, v8, v6
	ds_store_b64 v2, v[3:4]
	ds_store_b64 v5, v[0:1] offset:5824
.LBB0_25:
	s_wait_alu 0xfffe
	s_or_b32 exec_lo, exec_lo, s1
	global_wb scope:SCOPE_SE
	s_wait_dscnt 0x0
	s_barrier_signal -1
	s_barrier_wait -1
	global_inv scope:SCOPE_SE
	s_and_saveexec_b32 s0, vcc_lo
	s_cbranch_execz .LBB0_28
; %bb.26:
	v_mul_lo_u32 v2, s3, v28
	v_mul_lo_u32 v3, s2, v29
	v_mad_co_u64_u32 v[0:1], null, s2, v28, 0
	v_dual_mov_b32 v27, 0 :: v_dual_add_nc_u32 v8, 0xb6, v26
	v_lshlrev_b64_e32 v[6:7], 3, v[24:25]
	v_add_nc_u32_e32 v10, 0x16c, v26
	v_lshl_add_u32 v30, v26, 3, 0
	s_delay_alu instid0(VALU_DEP_4) | instskip(SKIP_2) | instid1(VALU_DEP_4)
	v_mov_b32_e32 v9, v27
	v_add3_u32 v1, v1, v3, v2
	v_lshlrev_b64_e32 v[12:13], 3, v[26:27]
	v_dual_mov_b32 v11, v27 :: v_dual_add_nc_u32 v18, 0xa00, v30
	s_delay_alu instid0(VALU_DEP_4) | instskip(NEXT) | instid1(VALU_DEP_4)
	v_lshlrev_b64_e32 v[8:9], 3, v[8:9]
	v_lshlrev_b64_e32 v[0:1], 3, v[0:1]
	v_dual_mov_b32 v21, v27 :: v_dual_add_nc_u32 v20, 0x2d8, v26
	s_delay_alu instid0(VALU_DEP_4) | instskip(SKIP_1) | instid1(VALU_DEP_4)
	v_lshlrev_b64_e32 v[10:11], 3, v[10:11]
	v_dual_mov_b32 v29, v27 :: v_dual_add_nc_u32 v22, 0x38e, v26
	v_add_co_u32 v0, vcc_lo, s6, v0
	s_wait_alu 0xfffd
	v_add_co_ci_u32_e32 v1, vcc_lo, s7, v1, vcc_lo
	ds_load_2addr_b64 v[2:5], v30 offset1:182
	v_add_co_u32 v0, vcc_lo, v0, v6
	s_wait_alu 0xfffd
	v_add_co_ci_u32_e32 v1, vcc_lo, v1, v7, vcc_lo
	v_lshlrev_b64_e32 v[20:21], 3, v[20:21]
	s_delay_alu instid0(VALU_DEP_3) | instskip(SKIP_1) | instid1(VALU_DEP_3)
	v_add_co_u32 v14, vcc_lo, v0, v12
	s_wait_alu 0xfffd
	v_add_co_ci_u32_e32 v15, vcc_lo, v1, v13, vcc_lo
	v_add_co_u32 v16, vcc_lo, v0, v8
	v_dual_mov_b32 v13, v27 :: v_dual_add_nc_u32 v12, 0x222, v26
	s_wait_alu 0xfffd
	v_add_co_ci_u32_e32 v17, vcc_lo, v1, v9, vcc_lo
	ds_load_2addr_b64 v[6:9], v18 offset0:44 offset1:226
	v_add_co_u32 v18, vcc_lo, v0, v10
	s_wait_alu 0xfffd
	v_add_co_ci_u32_e32 v19, vcc_lo, v1, v11, vcc_lo
	v_lshlrev_b64_e32 v[10:11], 3, v[12:13]
	v_dual_mov_b32 v23, v27 :: v_dual_add_nc_u32 v12, 0x1600, v30
	v_add_nc_u32_e32 v28, 0x444, v26
	ds_load_b64 v[30:31], v30 offset:8736
	v_add_co_u32 v24, vcc_lo, v0, v10
	v_lshlrev_b64_e32 v[22:23], 3, v[22:23]
	s_wait_alu 0xfffd
	v_add_co_ci_u32_e32 v25, vcc_lo, v1, v11, vcc_lo
	ds_load_2addr_b64 v[10:13], v12 offset0:24 offset1:206
	v_add_co_u32 v20, vcc_lo, v0, v20
	v_lshlrev_b64_e32 v[28:29], 3, v[28:29]
	s_wait_alu 0xfffd
	v_add_co_ci_u32_e32 v21, vcc_lo, v1, v21, vcc_lo
	v_add_co_u32 v22, vcc_lo, v0, v22
	s_wait_alu 0xfffd
	v_add_co_ci_u32_e32 v23, vcc_lo, v1, v23, vcc_lo
	v_add_co_u32 v28, vcc_lo, v0, v28
	s_wait_alu 0xfffd
	v_add_co_ci_u32_e32 v29, vcc_lo, v1, v29, vcc_lo
	v_cmp_eq_u32_e32 vcc_lo, 0xb5, v26
	s_wait_dscnt 0x3
	s_clause 0x1
	global_store_b64 v[14:15], v[2:3], off
	global_store_b64 v[16:17], v[4:5], off
	s_wait_dscnt 0x2
	s_clause 0x1
	global_store_b64 v[18:19], v[6:7], off
	global_store_b64 v[24:25], v[8:9], off
	;; [unrolled: 4-line block ×3, first 2 shown]
	global_store_b64 v[28:29], v[30:31], off
	s_and_b32 exec_lo, exec_lo, vcc_lo
	s_cbranch_execz .LBB0_28
; %bb.27:
	ds_load_b64 v[2:3], v27 offset:10192
	s_wait_dscnt 0x0
	global_store_b64 v[0:1], v[2:3], off offset:10192
.LBB0_28:
	s_nop 0
	s_sendmsg sendmsg(MSG_DEALLOC_VGPRS)
	s_endpgm
	.section	.rodata,"a",@progbits
	.p2align	6, 0x0
	.amdhsa_kernel fft_rtc_back_len1274_factors_2_13_7_7_wgs_182_tpt_182_halfLds_sp_op_CI_CI_unitstride_sbrr_R2C_dirReg
		.amdhsa_group_segment_fixed_size 0
		.amdhsa_private_segment_fixed_size 0
		.amdhsa_kernarg_size 104
		.amdhsa_user_sgpr_count 2
		.amdhsa_user_sgpr_dispatch_ptr 0
		.amdhsa_user_sgpr_queue_ptr 0
		.amdhsa_user_sgpr_kernarg_segment_ptr 1
		.amdhsa_user_sgpr_dispatch_id 0
		.amdhsa_user_sgpr_private_segment_size 0
		.amdhsa_wavefront_size32 1
		.amdhsa_uses_dynamic_stack 0
		.amdhsa_enable_private_segment 0
		.amdhsa_system_sgpr_workgroup_id_x 1
		.amdhsa_system_sgpr_workgroup_id_y 0
		.amdhsa_system_sgpr_workgroup_id_z 0
		.amdhsa_system_sgpr_workgroup_info 0
		.amdhsa_system_vgpr_workitem_id 0
		.amdhsa_next_free_vgpr 124
		.amdhsa_next_free_sgpr 39
		.amdhsa_reserve_vcc 1
		.amdhsa_float_round_mode_32 0
		.amdhsa_float_round_mode_16_64 0
		.amdhsa_float_denorm_mode_32 3
		.amdhsa_float_denorm_mode_16_64 3
		.amdhsa_fp16_overflow 0
		.amdhsa_workgroup_processor_mode 1
		.amdhsa_memory_ordered 1
		.amdhsa_forward_progress 0
		.amdhsa_round_robin_scheduling 0
		.amdhsa_exception_fp_ieee_invalid_op 0
		.amdhsa_exception_fp_denorm_src 0
		.amdhsa_exception_fp_ieee_div_zero 0
		.amdhsa_exception_fp_ieee_overflow 0
		.amdhsa_exception_fp_ieee_underflow 0
		.amdhsa_exception_fp_ieee_inexact 0
		.amdhsa_exception_int_div_zero 0
	.end_amdhsa_kernel
	.text
.Lfunc_end0:
	.size	fft_rtc_back_len1274_factors_2_13_7_7_wgs_182_tpt_182_halfLds_sp_op_CI_CI_unitstride_sbrr_R2C_dirReg, .Lfunc_end0-fft_rtc_back_len1274_factors_2_13_7_7_wgs_182_tpt_182_halfLds_sp_op_CI_CI_unitstride_sbrr_R2C_dirReg
                                        ; -- End function
	.section	.AMDGPU.csdata,"",@progbits
; Kernel info:
; codeLenInByte = 8604
; NumSgprs: 41
; NumVgprs: 124
; ScratchSize: 0
; MemoryBound: 0
; FloatMode: 240
; IeeeMode: 1
; LDSByteSize: 0 bytes/workgroup (compile time only)
; SGPRBlocks: 5
; VGPRBlocks: 15
; NumSGPRsForWavesPerEU: 41
; NumVGPRsForWavesPerEU: 124
; Occupancy: 10
; WaveLimiterHint : 1
; COMPUTE_PGM_RSRC2:SCRATCH_EN: 0
; COMPUTE_PGM_RSRC2:USER_SGPR: 2
; COMPUTE_PGM_RSRC2:TRAP_HANDLER: 0
; COMPUTE_PGM_RSRC2:TGID_X_EN: 1
; COMPUTE_PGM_RSRC2:TGID_Y_EN: 0
; COMPUTE_PGM_RSRC2:TGID_Z_EN: 0
; COMPUTE_PGM_RSRC2:TIDIG_COMP_CNT: 0
	.text
	.p2alignl 7, 3214868480
	.fill 96, 4, 3214868480
	.type	__hip_cuid_45a34168c76ccde,@object ; @__hip_cuid_45a34168c76ccde
	.section	.bss,"aw",@nobits
	.globl	__hip_cuid_45a34168c76ccde
__hip_cuid_45a34168c76ccde:
	.byte	0                               ; 0x0
	.size	__hip_cuid_45a34168c76ccde, 1

	.ident	"AMD clang version 19.0.0git (https://github.com/RadeonOpenCompute/llvm-project roc-6.4.0 25133 c7fe45cf4b819c5991fe208aaa96edf142730f1d)"
	.section	".note.GNU-stack","",@progbits
	.addrsig
	.addrsig_sym __hip_cuid_45a34168c76ccde
	.amdgpu_metadata
---
amdhsa.kernels:
  - .args:
      - .actual_access:  read_only
        .address_space:  global
        .offset:         0
        .size:           8
        .value_kind:     global_buffer
      - .offset:         8
        .size:           8
        .value_kind:     by_value
      - .actual_access:  read_only
        .address_space:  global
        .offset:         16
        .size:           8
        .value_kind:     global_buffer
      - .actual_access:  read_only
        .address_space:  global
        .offset:         24
        .size:           8
        .value_kind:     global_buffer
      - .actual_access:  read_only
        .address_space:  global
        .offset:         32
        .size:           8
        .value_kind:     global_buffer
      - .offset:         40
        .size:           8
        .value_kind:     by_value
      - .actual_access:  read_only
        .address_space:  global
        .offset:         48
        .size:           8
        .value_kind:     global_buffer
      - .actual_access:  read_only
        .address_space:  global
        .offset:         56
        .size:           8
        .value_kind:     global_buffer
      - .offset:         64
        .size:           4
        .value_kind:     by_value
      - .actual_access:  read_only
        .address_space:  global
        .offset:         72
        .size:           8
        .value_kind:     global_buffer
      - .actual_access:  read_only
        .address_space:  global
        .offset:         80
        .size:           8
        .value_kind:     global_buffer
      - .actual_access:  read_only
        .address_space:  global
        .offset:         88
        .size:           8
        .value_kind:     global_buffer
      - .actual_access:  write_only
        .address_space:  global
        .offset:         96
        .size:           8
        .value_kind:     global_buffer
    .group_segment_fixed_size: 0
    .kernarg_segment_align: 8
    .kernarg_segment_size: 104
    .language:       OpenCL C
    .language_version:
      - 2
      - 0
    .max_flat_workgroup_size: 182
    .name:           fft_rtc_back_len1274_factors_2_13_7_7_wgs_182_tpt_182_halfLds_sp_op_CI_CI_unitstride_sbrr_R2C_dirReg
    .private_segment_fixed_size: 0
    .sgpr_count:     41
    .sgpr_spill_count: 0
    .symbol:         fft_rtc_back_len1274_factors_2_13_7_7_wgs_182_tpt_182_halfLds_sp_op_CI_CI_unitstride_sbrr_R2C_dirReg.kd
    .uniform_work_group_size: 1
    .uses_dynamic_stack: false
    .vgpr_count:     124
    .vgpr_spill_count: 0
    .wavefront_size: 32
    .workgroup_processor_mode: 1
amdhsa.target:   amdgcn-amd-amdhsa--gfx1201
amdhsa.version:
  - 1
  - 2
...

	.end_amdgpu_metadata
